;; amdgpu-corpus repo=ROCm/rocFFT kind=compiled arch=gfx1030 opt=O3
	.text
	.amdgcn_target "amdgcn-amd-amdhsa--gfx1030"
	.amdhsa_code_object_version 6
	.protected	fft_rtc_fwd_len80_factors_10_8_wgs_160_tpt_10_sp_op_CI_CI_sbcc_twdbase8_2step_dirReg_intrinsicReadWrite ; -- Begin function fft_rtc_fwd_len80_factors_10_8_wgs_160_tpt_10_sp_op_CI_CI_sbcc_twdbase8_2step_dirReg_intrinsicReadWrite
	.globl	fft_rtc_fwd_len80_factors_10_8_wgs_160_tpt_10_sp_op_CI_CI_sbcc_twdbase8_2step_dirReg_intrinsicReadWrite
	.p2align	8
	.type	fft_rtc_fwd_len80_factors_10_8_wgs_160_tpt_10_sp_op_CI_CI_sbcc_twdbase8_2step_dirReg_intrinsicReadWrite,@function
fft_rtc_fwd_len80_factors_10_8_wgs_160_tpt_10_sp_op_CI_CI_sbcc_twdbase8_2step_dirReg_intrinsicReadWrite: ; @fft_rtc_fwd_len80_factors_10_8_wgs_160_tpt_10_sp_op_CI_CI_sbcc_twdbase8_2step_dirReg_intrinsicReadWrite
; %bb.0:
	s_clause 0x1
	s_load_dwordx4 s[0:3], s[4:5], 0x18
	s_load_dwordx2 s[30:31], s[4:5], 0x28
	s_mov_b32 s7, 0
	s_mov_b64 s[24:25], 0
	s_waitcnt lgkmcnt(0)
	s_load_dwordx2 s[28:29], s[0:1], 0x8
	s_waitcnt lgkmcnt(0)
	s_add_u32 s8, s28, -1
	s_addc_u32 s9, s29, -1
	s_lshr_b64 s[8:9], s[8:9], 4
	s_add_u32 s34, s8, 1
	s_addc_u32 s35, s9, 0
	v_cmp_lt_u64_e64 s8, s[6:7], s[34:35]
	s_and_b32 vcc_lo, exec_lo, s8
	s_cbranch_vccnz .LBB0_2
; %bb.1:
	v_cvt_f32_u32_e32 v1, s34
	s_sub_i32 s9, 0, s34
	s_mov_b32 s25, s7
	v_rcp_iflag_f32_e32 v1, v1
	v_mul_f32_e32 v1, 0x4f7ffffe, v1
	v_cvt_u32_f32_e32 v1, v1
	v_readfirstlane_b32 s8, v1
	s_mul_i32 s9, s9, s8
	s_mul_hi_u32 s9, s8, s9
	s_add_i32 s8, s8, s9
	s_mul_hi_u32 s8, s6, s8
	s_mul_i32 s9, s8, s34
	s_add_i32 s10, s8, 1
	s_sub_i32 s9, s6, s9
	s_sub_i32 s11, s9, s34
	s_cmp_ge_u32 s9, s34
	s_cselect_b32 s8, s10, s8
	s_cselect_b32 s9, s11, s9
	s_add_i32 s10, s8, 1
	s_cmp_ge_u32 s9, s34
	s_cselect_b32 s24, s10, s8
.LBB0_2:
	s_load_dwordx4 s[20:23], s[2:3], 0x0
	s_load_dwordx4 s[8:11], s[30:31], 0x0
	s_load_dwordx4 s[16:19], s[4:5], 0x8
	s_waitcnt lgkmcnt(0)
	s_mul_i32 s9, s24, s35
	s_mul_hi_u32 s12, s24, s34
	s_mul_i32 s13, s24, s34
	s_add_i32 s12, s12, s9
	s_sub_u32 s36, s6, s13
	s_subb_u32 s37, 0, s12
	s_clause 0x1
	s_load_dwordx2 s[26:27], s[4:5], 0x0
	s_load_dwordx4 s[12:15], s[4:5], 0x60
	v_alignbit_b32 v1, s37, s36, 28
	s_lshl_b64 s[4:5], s[36:37], 4
	v_mul_lo_u32 v2, s22, v1
	v_mul_lo_u32 v1, s10, v1
	s_mul_hi_u32 s9, s22, s4
	s_mul_hi_u32 s33, s10, s4
	v_cmp_lt_u64_e64 s36, s[18:19], 3
	s_mul_i32 s21, s23, s4
	s_mul_i32 s23, s22, s4
	;; [unrolled: 1-line block ×3, first 2 shown]
	v_add_nc_u32_e32 v2, s9, v2
	v_add_nc_u32_e32 v4, s33, v1
	s_mul_i32 s9, s10, s4
	v_mov_b32_e32 v3, s23
	v_mov_b32_e32 v22, s9
	v_add_nc_u32_e32 v1, s21, v2
	v_add_nc_u32_e32 v2, s11, v4
	s_and_b32 vcc_lo, exec_lo, s36
	s_cbranch_vccnz .LBB0_11
; %bb.3:
	s_add_u32 s36, s30, 16
	s_addc_u32 s37, s31, 0
	s_add_u32 s38, s2, 16
	s_addc_u32 s39, s3, 0
	;; [unrolled: 2-line block ×3, first 2 shown]
	s_mov_b64 s[40:41], 2
	s_mov_b32 s42, 0
	s_branch .LBB0_5
.LBB0_4:                                ;   in Loop: Header=BB0_5 Depth=1
	s_load_dwordx2 s[48:49], s[38:39], 0x0
	s_load_dwordx2 s[50:51], s[36:37], 0x0
	s_mul_i32 s9, s44, s35
	s_mul_hi_u32 s11, s44, s34
	s_mul_i32 s23, s46, s45
	s_mul_hi_u32 s33, s46, s44
	s_mul_i32 s21, s45, s34
	s_mul_i32 s43, s47, s44
	s_add_i32 s9, s11, s9
	s_add_i32 s11, s33, s23
	s_mul_i32 s45, s46, s44
	s_add_i32 s35, s9, s21
	s_add_i32 s11, s11, s43
	s_sub_u32 s9, s24, s45
	s_subb_u32 s11, s25, s11
	s_mul_i32 s34, s44, s34
	s_waitcnt lgkmcnt(0)
	s_mul_i32 s21, s48, s11
	s_mul_hi_u32 s23, s48, s9
	s_mul_i32 s11, s50, s11
	s_mul_hi_u32 s33, s50, s9
	s_mul_i32 s24, s49, s9
	s_add_i32 s21, s23, s21
	s_add_i32 s11, s33, s11
	s_mul_i32 s23, s51, s9
	s_mul_i32 s25, s48, s9
	s_add_i32 s21, s21, s24
	s_add_i32 s11, s11, s23
	v_add_co_u32 v3, vcc_lo, s25, v3
	s_add_u32 s40, s40, 1
	s_mul_i32 s9, s50, s9
	s_addc_u32 s41, s41, 0
	v_add_co_ci_u32_e32 v1, vcc_lo, s21, v1, vcc_lo
	v_add_co_u32 v22, vcc_lo, s9, v22
	v_cmp_ge_u64_e64 s9, s[40:41], s[18:19]
	s_add_u32 s36, s36, 8
	s_addc_u32 s37, s37, 0
	v_add_co_ci_u32_e32 v2, vcc_lo, s11, v2, vcc_lo
	s_add_u32 s38, s38, 8
	s_addc_u32 s39, s39, 0
	s_add_u32 s0, s0, 8
	s_addc_u32 s1, s1, 0
	s_and_b32 vcc_lo, exec_lo, s9
	s_mov_b64 s[24:25], s[46:47]
	s_cbranch_vccnz .LBB0_9
.LBB0_5:                                ; =>This Inner Loop Header: Depth=1
	s_load_dwordx2 s[44:45], s[0:1], 0x0
	s_mov_b32 s9, -1
	s_waitcnt lgkmcnt(0)
	s_or_b64 s[46:47], s[24:25], s[44:45]
	s_mov_b32 s43, s47
                                        ; implicit-def: $sgpr46_sgpr47
	s_cmp_lg_u64 s[42:43], 0
	s_cbranch_scc0 .LBB0_7
; %bb.6:                                ;   in Loop: Header=BB0_5 Depth=1
	v_cvt_f32_u32_e32 v4, s44
	v_cvt_f32_u32_e32 v5, s45
	s_sub_u32 s21, 0, s44
	s_subb_u32 s23, 0, s45
	v_fmac_f32_e32 v4, 0x4f800000, v5
	v_rcp_f32_e32 v4, v4
	v_mul_f32_e32 v4, 0x5f7ffffc, v4
	v_mul_f32_e32 v5, 0x2f800000, v4
	v_trunc_f32_e32 v5, v5
	v_fmac_f32_e32 v4, 0xcf800000, v5
	v_cvt_u32_f32_e32 v5, v5
	v_cvt_u32_f32_e32 v4, v4
	v_readfirstlane_b32 s9, v5
	v_readfirstlane_b32 s11, v4
	s_mul_i32 s33, s21, s9
	s_mul_hi_u32 s46, s21, s11
	s_mul_i32 s43, s23, s11
	s_add_i32 s33, s46, s33
	s_mul_i32 s47, s21, s11
	s_add_i32 s33, s33, s43
	s_mul_hi_u32 s46, s11, s47
	s_mul_hi_u32 s48, s9, s47
	s_mul_i32 s43, s9, s47
	s_mul_hi_u32 s47, s11, s33
	s_mul_i32 s11, s11, s33
	s_mul_hi_u32 s49, s9, s33
	s_add_u32 s11, s46, s11
	s_addc_u32 s46, 0, s47
	s_add_u32 s11, s11, s43
	s_mul_i32 s33, s9, s33
	s_addc_u32 s11, s46, s48
	s_addc_u32 s43, s49, 0
	s_add_u32 s11, s11, s33
	s_addc_u32 s33, 0, s43
	v_add_co_u32 v4, s11, v4, s11
	s_cmp_lg_u32 s11, 0
	s_addc_u32 s9, s9, s33
	v_readfirstlane_b32 s11, v4
	s_mul_i32 s33, s21, s9
	s_mul_hi_u32 s43, s21, s11
	s_mul_i32 s23, s23, s11
	s_add_i32 s33, s43, s33
	s_mul_i32 s21, s21, s11
	s_add_i32 s33, s33, s23
	s_mul_hi_u32 s43, s9, s21
	s_mul_i32 s46, s9, s21
	s_mul_hi_u32 s21, s11, s21
	s_mul_hi_u32 s47, s11, s33
	s_mul_i32 s11, s11, s33
	s_mul_hi_u32 s23, s9, s33
	s_add_u32 s11, s21, s11
	s_addc_u32 s21, 0, s47
	s_add_u32 s11, s11, s46
	s_mul_i32 s33, s9, s33
	s_addc_u32 s11, s21, s43
	s_addc_u32 s21, s23, 0
	s_add_u32 s11, s11, s33
	s_addc_u32 s21, 0, s21
	v_add_co_u32 v4, s11, v4, s11
	s_cmp_lg_u32 s11, 0
	s_addc_u32 s9, s9, s21
	v_readfirstlane_b32 s11, v4
	s_mul_i32 s23, s24, s9
	s_mul_hi_u32 s21, s24, s9
	s_mul_hi_u32 s33, s25, s9
	s_mul_i32 s9, s25, s9
	s_mul_hi_u32 s43, s24, s11
	s_mul_hi_u32 s46, s25, s11
	s_mul_i32 s11, s25, s11
	s_add_u32 s23, s43, s23
	s_addc_u32 s21, 0, s21
	s_add_u32 s11, s23, s11
	s_addc_u32 s11, s21, s46
	s_addc_u32 s21, s33, 0
	s_add_u32 s11, s11, s9
	s_addc_u32 s21, 0, s21
	s_mul_hi_u32 s9, s44, s11
	s_mul_i32 s33, s44, s21
	s_mul_i32 s43, s44, s11
	s_add_i32 s9, s9, s33
	v_sub_co_u32 v4, s33, s24, s43
	s_mul_i32 s23, s45, s11
	s_add_i32 s9, s9, s23
	v_sub_co_u32 v5, s43, v4, s44
	s_sub_i32 s23, s25, s9
	s_cmp_lg_u32 s33, 0
	s_subb_u32 s23, s23, s45
	s_cmp_lg_u32 s43, 0
	v_readfirstlane_b32 s43, v5
	s_subb_u32 s23, s23, 0
	s_cmp_ge_u32 s23, s45
	s_cselect_b32 s46, -1, 0
	s_cmp_ge_u32 s43, s44
	s_cselect_b32 s43, -1, 0
	s_cmp_eq_u32 s23, s45
	s_cselect_b32 s23, s43, s46
	s_add_u32 s43, s11, 1
	s_addc_u32 s46, s21, 0
	s_add_u32 s47, s11, 2
	s_addc_u32 s48, s21, 0
	s_cmp_lg_u32 s23, 0
	s_cselect_b32 s23, s47, s43
	s_cselect_b32 s43, s48, s46
	s_cmp_lg_u32 s33, 0
	v_readfirstlane_b32 s33, v4
	s_subb_u32 s9, s25, s9
	s_cmp_ge_u32 s9, s45
	s_cselect_b32 s46, -1, 0
	s_cmp_ge_u32 s33, s44
	s_cselect_b32 s33, -1, 0
	s_cmp_eq_u32 s9, s45
	s_cselect_b32 s9, s33, s46
	s_cmp_lg_u32 s9, 0
	s_mov_b32 s9, 0
	s_cselect_b32 s47, s43, s21
	s_cselect_b32 s46, s23, s11
.LBB0_7:                                ;   in Loop: Header=BB0_5 Depth=1
	s_andn2_b32 vcc_lo, exec_lo, s9
	s_cbranch_vccnz .LBB0_4
; %bb.8:                                ;   in Loop: Header=BB0_5 Depth=1
	v_cvt_f32_u32_e32 v4, s44
	s_sub_i32 s11, 0, s44
	s_mov_b32 s47, s42
	v_rcp_iflag_f32_e32 v4, v4
	v_mul_f32_e32 v4, 0x4f7ffffe, v4
	v_cvt_u32_f32_e32 v4, v4
	v_readfirstlane_b32 s9, v4
	s_mul_i32 s11, s11, s9
	s_mul_hi_u32 s11, s9, s11
	s_add_i32 s9, s9, s11
	s_mul_hi_u32 s9, s24, s9
	s_mul_i32 s11, s9, s44
	s_add_i32 s21, s9, 1
	s_sub_i32 s11, s24, s11
	s_sub_i32 s23, s11, s44
	s_cmp_ge_u32 s11, s44
	s_cselect_b32 s9, s21, s9
	s_cselect_b32 s11, s23, s11
	s_add_i32 s21, s9, 1
	s_cmp_ge_u32 s11, s44
	s_cselect_b32 s46, s21, s9
	s_branch .LBB0_4
.LBB0_9:
	v_cmp_lt_u64_e64 s0, s[6:7], s[34:35]
	s_mov_b64 s[24:25], 0
	s_and_b32 vcc_lo, exec_lo, s0
	s_cbranch_vccnz .LBB0_11
; %bb.10:
	v_cvt_f32_u32_e32 v1, s34
	s_sub_i32 s1, 0, s34
	v_rcp_iflag_f32_e32 v1, v1
	v_mul_f32_e32 v1, 0x4f7ffffe, v1
	v_cvt_u32_f32_e32 v1, v1
	v_readfirstlane_b32 s0, v1
	s_mul_i32 s1, s1, s0
	s_mul_hi_u32 s1, s0, s1
	s_add_i32 s0, s0, s1
	s_mul_hi_u32 s0, s6, s0
	s_mul_i32 s1, s0, s34
	s_sub_i32 s1, s6, s1
	s_add_i32 s6, s0, 1
	s_sub_i32 s7, s1, s34
	s_cmp_ge_u32 s1, s34
	s_cselect_b32 s0, s6, s0
	s_cselect_b32 s1, s7, s1
	s_add_i32 s6, s0, 1
	s_cmp_ge_u32 s1, s34
	s_cselect_b32 s24, s6, s0
.LBB0_11:
	v_and_b32_e32 v23, 15, v0
	s_lshl_b64 s[0:1], s[18:19], 3
	v_mov_b32_e32 v2, s5
	s_add_u32 s6, s2, s0
	s_addc_u32 s7, s3, s1
	v_or_b32_e32 v1, s4, v23
	s_add_u32 s2, s30, s0
	s_addc_u32 s3, s31, s1
	s_add_u32 s0, s4, 16
	s_addc_u32 s1, s5, 0
	v_cmp_gt_u64_e32 vcc_lo, s[28:29], v[1:2]
	v_cmp_le_u64_e64 s9, s[0:1], s[28:29]
	v_cmp_gt_u32_e64 s1, 0x80, v0
	v_cmp_lt_u32_e64 s0, 0x7f, v0
	s_load_dword s6, s[6:7], 0x0
	v_lshrrev_b32_e32 v24, 4, v0
	v_cndmask_b32_e64 v2, 0, 1, vcc_lo
	v_cndmask_b32_e64 v4, 0, 1, s1
	s_or_b32 s0, s0, s9
	v_mul_lo_u32 v8, s22, v23
	v_mul_lo_u32 v5, s20, v24
	v_or_b32_e32 v6, 16, v24
	v_cndmask_b32_e64 v2, v2, v4, s0
	v_add_nc_u32_e32 v4, 8, v24
	v_add_nc_u32_e32 v7, 24, v24
	;; [unrolled: 1-line block ×3, first 2 shown]
	v_or_b32_e32 v11, 64, v24
	v_and_b32_e32 v2, 1, v2
	v_add_lshl_u32 v5, v8, v5, 3
	v_mul_lo_u32 v4, s20, v4
	v_add_nc_u32_e32 v12, 0x48, v24
	v_mul_lo_u32 v10, s20, v10
	v_cmp_eq_u32_e64 s0, 1, v2
	v_mul_lo_u32 v11, s20, v11
	s_waitcnt lgkmcnt(0)
	s_mul_i32 s6, s6, s24
	v_mul_lo_u32 v16, s20, v12
	v_add_nc_u32_e32 v3, s6, v3
	v_cndmask_b32_e64 v2, -1, v5, s0
	v_mul_lo_u32 v5, s20, v6
	v_mul_lo_u32 v6, s20, v7
	v_or_b32_e32 v7, 32, v24
	v_lshlrev_b32_e32 v3, 3, v3
	v_add_lshl_u32 v4, v8, v4, 3
	v_add_lshl_u32 v10, v8, v10, 3
	v_add_lshl_u32 v11, v8, v11, 3
	v_mul_lo_u32 v7, s20, v7
	v_add_lshl_u32 v5, v8, v5, 3
	v_add_lshl_u32 v6, v8, v6, 3
	v_readfirstlane_b32 s11, v3
	v_cndmask_b32_e64 v3, -1, v4, s0
	s_mov_b32 s7, 0x31014000
	v_cndmask_b32_e64 v4, -1, v5, s0
	v_cndmask_b32_e64 v5, -1, v6, s0
	v_add_nc_u32_e32 v6, 40, v24
	v_add_lshl_u32 v9, v8, v7, 3
	v_or_b32_e32 v7, 48, v24
	s_mov_b32 s6, -2
	s_mov_b32 s4, s12
	v_mul_lo_u32 v14, s20, v6
	v_cndmask_b32_e64 v9, -1, v9, s0
	v_mul_lo_u32 v15, s20, v7
	s_mov_b32 s5, s13
	v_cndmask_b32_e64 v10, -1, v10, s0
	v_cndmask_b32_e64 v11, -1, v11, s0
	s_clause 0x3
	buffer_load_dwordx2 v[6:7], v2, s[4:7], s11 offen
	buffer_load_dwordx2 v[2:3], v3, s[4:7], s11 offen
	;; [unrolled: 1-line block ×4, first 2 shown]
	v_add_lshl_u32 v14, v8, v14, 3
	v_add_lshl_u32 v15, v8, v15, 3
	;; [unrolled: 1-line block ×3, first 2 shown]
	v_cndmask_b32_e64 v14, -1, v14, s0
	v_cndmask_b32_e64 v15, -1, v15, s0
	;; [unrolled: 1-line block ×3, first 2 shown]
	s_clause 0x5
	buffer_load_dwordx2 v[18:19], v9, s[4:7], s11 offen
	buffer_load_dwordx2 v[20:21], v14, s[4:7], s11 offen
	;; [unrolled: 1-line block ×6, first 2 shown]
	s_load_dwordx2 s[2:3], s[2:3], 0x0
	v_lshlrev_b32_e32 v25, 3, v23
	s_and_saveexec_b32 s0, s1
	s_cbranch_execz .LBB0_13
; %bb.12:
	s_waitcnt vmcnt(3)
	v_add_f32_e32 v27, v19, v15
	s_waitcnt vmcnt(2)
	v_add_f32_e32 v29, v20, v16
	v_add_f32_e32 v31, v21, v17
	v_sub_f32_e32 v35, v5, v21
	s_waitcnt vmcnt(0)
	v_sub_f32_e32 v36, v11, v17
	v_add_f32_e32 v44, v13, v9
	v_fma_f32 v32, -0.5, v27, v7
	v_fma_f32 v33, -0.5, v29, v2
	v_fma_f32 v34, -0.5, v31, v3
	v_sub_f32_e32 v31, v5, v11
	v_add_f32_e32 v35, v35, v36
	v_sub_f32_e32 v36, v18, v14
	v_add_f32_e32 v45, v5, v11
	v_fma_f32 v44, -0.5, v44, v7
	v_add_f32_e32 v7, v7, v13
	v_sub_f32_e32 v29, v4, v10
	v_sub_f32_e32 v30, v12, v8
	;; [unrolled: 1-line block ×4, first 2 shown]
	v_fmamk_f32 v40, v31, 0xbf737871, v33
	v_sub_f32_e32 v41, v21, v17
	v_fma_f32 v45, -0.5, v45, v3
	v_sub_f32_e32 v49, v21, v5
	v_fmamk_f32 v54, v36, 0xbf737871, v44
	v_fmac_f32_e32 v44, 0x3f737871, v36
	v_fmac_f32_e32 v33, 0x3f737871, v31
	v_add_f32_e32 v3, v3, v5
	v_add_f32_e32 v5, v7, v19
	v_sub_f32_e32 v37, v20, v16
	v_fmamk_f32 v38, v29, 0x3f737871, v34
	v_add_f32_e32 v46, v4, v10
	v_sub_f32_e32 v26, v13, v19
	v_sub_f32_e32 v28, v9, v15
	v_fmamk_f32 v42, v30, 0x3f737871, v32
	v_add_f32_e32 v39, v27, v39
	v_fmac_f32_e32 v40, 0xbf167918, v41
	v_sub_f32_e32 v43, v19, v13
	v_sub_f32_e32 v47, v15, v9
	v_fmac_f32_e32 v54, 0x3f167918, v30
	v_fmac_f32_e32 v44, 0xbf167918, v30
	;; [unrolled: 1-line block ×4, first 2 shown]
	v_add_f32_e32 v30, v18, v14
	v_sub_f32_e32 v19, v19, v15
	v_add_f32_e32 v5, v5, v15
	v_add_f32_e32 v15, v12, v8
	v_fmac_f32_e32 v38, 0x3f167918, v37
	v_fma_f32 v46, -0.5, v46, v2
	v_fmac_f32_e32 v42, 0x3f167918, v36
	v_fmac_f32_e32 v40, 0x3e9e377a, v39
	;; [unrolled: 1-line block ×5, first 2 shown]
	v_fma_f32 v36, -0.5, v30, v6
	v_fma_f32 v39, -0.5, v15, v6
	v_add_f32_e32 v6, v6, v12
	v_fmac_f32_e32 v38, 0x3e9e377a, v35
	v_sub_f32_e32 v48, v20, v4
	v_sub_f32_e32 v50, v17, v11
	v_fmamk_f32 v51, v37, 0xbf737871, v45
	v_sub_f32_e32 v52, v16, v10
	v_fmamk_f32 v53, v41, 0x3f737871, v46
	v_fmac_f32_e32 v46, 0xbf737871, v41
	v_fmac_f32_e32 v45, 0x3f737871, v37
	v_add_f32_e32 v3, v3, v21
	v_fmac_f32_e32 v34, 0xbf167918, v37
	v_sub_f32_e32 v13, v13, v9
	v_add_f32_e32 v2, v2, v4
	v_add_f32_e32 v6, v6, v18
	v_mul_f32_e32 v27, 0x3f4f1bbd, v38
	v_add_f32_e32 v49, v49, v50
	v_fmac_f32_e32 v51, 0x3f167918, v29
	v_add_f32_e32 v48, v48, v52
	v_fmac_f32_e32 v53, 0xbf167918, v31
	v_fmac_f32_e32 v46, 0x3f167918, v31
	;; [unrolled: 1-line block ×3, first 2 shown]
	v_sub_f32_e32 v7, v12, v18
	v_sub_f32_e32 v21, v8, v14
	v_add_f32_e32 v3, v3, v17
	v_fmac_f32_e32 v34, 0x3e9e377a, v35
	v_fmamk_f32 v37, v13, 0xbf737871, v36
	v_add_f32_e32 v2, v2, v20
	v_fmac_f32_e32 v36, 0x3f737871, v13
	v_add_f32_e32 v6, v6, v14
	v_add_f32_e32 v26, v26, v28
	v_fma_f32 v28, 0xbf167918, v40, -v27
	v_fmac_f32_e32 v51, 0x3e9e377a, v49
	v_fmac_f32_e32 v53, 0x3e9e377a, v48
	;; [unrolled: 1-line block ×4, first 2 shown]
	v_add_f32_e32 v7, v7, v21
	v_add_f32_e32 v17, v5, v9
	;; [unrolled: 1-line block ×3, first 2 shown]
	v_mul_f32_e32 v3, 0x3f4f1bbd, v40
	v_sub_f32_e32 v9, v18, v12
	v_sub_f32_e32 v11, v14, v8
	v_fmamk_f32 v40, v19, 0x3f737871, v39
	v_fmac_f32_e32 v39, 0xbf737871, v19
	v_mul_f32_e32 v35, 0xbf167918, v33
	v_add_f32_e32 v2, v2, v16
	v_fmac_f32_e32 v36, 0x3f167918, v19
	v_mul_f32_e32 v16, 0x3f167918, v34
	v_add_f32_e32 v6, v6, v8
	v_mul_u32_u24_e32 v8, 0xa0, v24
	v_add_f32_e32 v43, v43, v47
	v_mul_f32_e32 v47, 0x3e9e377a, v51
	v_mul_f32_e32 v48, 0xbf737871, v46
	v_add_f32_e32 v9, v9, v11
	v_fmac_f32_e32 v40, 0xbf167918, v13
	v_mul_f32_e32 v4, 0x3e9e377a, v53
	v_fmac_f32_e32 v39, 0x3f167918, v13
	v_mul_f32_e32 v18, 0x3f737871, v45
	v_fmac_f32_e32 v37, 0xbf167918, v19
	v_fmac_f32_e32 v32, 0x3e9e377a, v26
	;; [unrolled: 1-line block ×3, first 2 shown]
	v_add_f32_e32 v2, v2, v10
	v_fmac_f32_e32 v36, 0x3e9e377a, v7
	v_fmac_f32_e32 v16, 0x3f4f1bbd, v33
	v_lshlrev_b32_e32 v10, 3, v8
	v_fmac_f32_e32 v54, 0x3e9e377a, v43
	v_fma_f32 v47, 0xbf737871, v53, -v47
	v_fmac_f32_e32 v44, 0x3e9e377a, v43
	v_fmac_f32_e32 v48, 0x3e9e377a, v45
	;; [unrolled: 1-line block ×5, first 2 shown]
	v_fma_f32 v19, 0x3f737871, v51, -v4
	v_fmac_f32_e32 v42, 0x3e9e377a, v26
	v_fmac_f32_e32 v37, 0x3e9e377a, v7
	v_fma_f32 v38, 0x3f167918, v38, -v3
	v_sub_f32_e32 v5, v17, v21
	v_add_f32_e32 v13, v32, v35
	v_add_f32_e32 v15, v17, v21
	;; [unrolled: 1-line block ×4, first 2 shown]
	v_add3_u32 v17, 0, v10, v25
	v_add_f32_e32 v9, v54, v47
	v_add_f32_e32 v11, v44, v48
	;; [unrolled: 1-line block ×4, first 2 shown]
	v_sub_f32_e32 v4, v6, v2
	v_add_f32_e32 v7, v42, v28
	v_add_f32_e32 v6, v37, v38
	v_sub_f32_e32 v31, v44, v48
	v_sub_f32_e32 v3, v32, v35
	;; [unrolled: 1-line block ×8, first 2 shown]
	ds_write2_b64 v17, v[14:15], v[12:13] offset1:16
	ds_write2_b64 v17, v[10:11], v[8:9] offset0:32 offset1:48
	ds_write2_b64 v17, v[6:7], v[4:5] offset0:64 offset1:80
	;; [unrolled: 1-line block ×4, first 2 shown]
.LBB0_13:
	s_or_b32 exec_lo, exec_lo, s0
	s_waitcnt vmcnt(8)
	v_mul_lo_u16 v2, v24, 26
	s_waitcnt vmcnt(0) lgkmcnt(0)
	s_barrier
	buffer_gl0_inv
	v_lshlrev_b32_e32 v15, 7, v24
	v_lshrrev_b16 v2, 8, v2
	v_mov_b32_e32 v26, 3
	s_mul_i32 s0, s2, s24
	s_or_b32 vcc_lo, s9, vcc_lo
	v_add3_u32 v51, 0, v15, v25
	v_mul_lo_u16 v2, v2, 10
	s_mov_b32 s4, s14
	s_mov_b32 s5, s15
	v_add_nc_u32_e32 v15, 0x800, v51
	v_sub_nc_u16 v2, v24, v2
	v_add_nc_u32_e32 v18, 0x1400, v51
	v_and_b32_e32 v50, 0xff, v2
	v_mul_u32_u24_e32 v2, 7, v50
	v_mul_lo_u32 v27, v1, v50
	v_add_nc_u32_e32 v28, 10, v50
	v_add_nc_u32_e32 v29, 20, v50
	v_add_nc_u32_e32 v30, 30, v50
	v_lshlrev_b32_e32 v14, 3, v2
	v_add_nc_u32_e32 v31, 40, v50
	v_add_nc_u32_e32 v32, 50, v50
	;; [unrolled: 1-line block ×4, first 2 shown]
	s_clause 0x3
	global_load_dwordx4 v[2:5], v14, s[26:27]
	global_load_dwordx4 v[6:9], v14, s[26:27] offset:16
	global_load_dwordx4 v[10:13], v14, s[26:27] offset:32
	global_load_dwordx2 v[24:25], v14, s[26:27] offset:48
	ds_read2_b64 v[14:17], v15 offset0:64 offset1:224
	ds_read2_b64 v[18:21], v18 offset1:160
	v_mul_lo_u32 v28, v1, v28
	v_mul_lo_u32 v29, v1, v29
	v_bfe_u32 v35, v27, 8, 8
	v_mul_lo_u32 v30, v1, v30
	v_mul_lo_u32 v31, v1, v31
	v_mul_lo_u32 v32, v1, v32
	v_mul_lo_u32 v33, v1, v33
	v_mul_lo_u32 v1, v1, v34
	v_lshlrev_b32_sdwa v27, v26, v27 dst_sel:DWORD dst_unused:UNUSED_PAD src0_sel:DWORD src1_sel:BYTE_0
	v_lshl_or_b32 v34, v35, 3, 0x800
	v_lshlrev_b32_sdwa v35, v26, v28 dst_sel:DWORD dst_unused:UNUSED_PAD src0_sel:DWORD src1_sel:BYTE_0
	v_bfe_u32 v28, v28, 8, 8
	v_lshlrev_b32_sdwa v36, v26, v29 dst_sel:DWORD dst_unused:UNUSED_PAD src0_sel:DWORD src1_sel:BYTE_0
	v_bfe_u32 v29, v29, 8, 8
	v_lshlrev_b32_sdwa v38, v26, v30 dst_sel:DWORD dst_unused:UNUSED_PAD src0_sel:DWORD src1_sel:BYTE_0
	v_lshlrev_b32_sdwa v42, v26, v31 dst_sel:DWORD dst_unused:UNUSED_PAD src0_sel:DWORD src1_sel:BYTE_0
	v_lshlrev_b32_sdwa v44, v26, v32 dst_sel:DWORD dst_unused:UNUSED_PAD src0_sel:DWORD src1_sel:BYTE_0
	v_lshlrev_b32_sdwa v46, v26, v33 dst_sel:DWORD dst_unused:UNUSED_PAD src0_sel:DWORD src1_sel:BYTE_0
	v_lshlrev_b32_sdwa v52, v26, v1 dst_sel:DWORD dst_unused:UNUSED_PAD src0_sel:DWORD src1_sel:BYTE_0
	v_lshl_or_b32 v37, v28, 3, 0x800
	v_lshl_or_b32 v39, v29, 3, 0x800
	s_clause 0x1
	global_load_dwordx2 v[26:27], v27, s[16:17]
	global_load_dwordx2 v[28:29], v34, s[16:17]
	v_bfe_u32 v30, v30, 8, 8
	v_bfe_u32 v31, v31, 8, 8
	;; [unrolled: 1-line block ×5, first 2 shown]
	v_lshl_or_b32 v40, v30, 3, 0x800
	v_lshl_or_b32 v43, v31, 3, 0x800
	v_lshl_or_b32 v45, v32, 3, 0x800
	v_lshl_or_b32 v1, v1, 3, 0x800
	v_lshl_or_b32 v48, v33, 3, 0x800
	s_clause 0x5
	global_load_dwordx2 v[30:31], v35, s[16:17]
	global_load_dwordx2 v[32:33], v37, s[16:17]
	;; [unrolled: 1-line block ×6, first 2 shown]
	s_waitcnt vmcnt(11) lgkmcnt(1)
	v_mul_f32_e32 v47, v5, v15
	v_mul_f32_e32 v53, v5, v14
	s_waitcnt vmcnt(10)
	v_mul_f32_e32 v5, v7, v17
	v_mul_f32_e32 v54, v7, v16
	s_waitcnt lgkmcnt(0)
	v_mul_f32_e32 v7, v9, v19
	v_mul_f32_e32 v55, v9, v18
	v_fma_f32 v56, v4, v14, -v47
	v_fmac_f32_e32 v53, v4, v15
	s_clause 0x1
	global_load_dwordx2 v[14:15], v42, s[16:17]
	global_load_dwordx2 v[42:43], v43, s[16:17]
	v_fma_f32 v57, v6, v16, -v5
	v_fmac_f32_e32 v54, v6, v17
	s_clause 0x3
	global_load_dwordx2 v[16:17], v44, s[16:17]
	global_load_dwordx2 v[44:45], v45, s[16:17]
	;; [unrolled: 1-line block ×4, first 2 shown]
	v_fma_f32 v58, v8, v18, -v7
	v_fmac_f32_e32 v55, v8, v19
	s_clause 0x1
	global_load_dwordx2 v[8:9], v52, s[16:17]
	global_load_dwordx2 v[18:19], v1, s[16:17]
	v_add_nc_u32_e32 v4, 0x1c00, v51
	s_waitcnt vmcnt(17)
	v_mul_f32_e32 v1, v11, v21
	v_mul_f32_e32 v11, v11, v20
	ds_read2_b32 v[4:5], v4 offset0:128 offset1:129
	v_fma_f32 v20, v10, v20, -v1
	v_fmac_f32_e32 v11, v10, v21
	v_add_nc_u32_e32 v21, s0, v22
	v_mul_lo_u32 v22, s10, v23
	v_lshlrev_b32_e32 v21, 3, v21
	v_readfirstlane_b32 s0, v21
	s_waitcnt lgkmcnt(0)
	v_mul_f32_e32 v1, v5, v13
	v_mul_f32_e32 v10, v13, v4
	v_fma_f32 v13, v12, v4, -v1
	v_fmac_f32_e32 v10, v5, v12
	ds_read2_b64 v[4:7], v51 offset1:160
	v_mul_u32_u24_e32 v12, 0x19a, v0
	ds_read_b64 v[0:1], v51 offset:8960
	v_sub_f32_e32 v13, v56, v13
	v_sub_f32_e32 v10, v53, v10
	v_lshrrev_b32_e32 v12, 16, v12
	v_mul_lo_u16 v12, 0x50, v12
	v_or_b32_sdwa v12, v12, v50 dst_sel:DWORD dst_unused:UNUSED_PAD src0_sel:WORD_0 src1_sel:DWORD
	s_waitcnt lgkmcnt(1)
	v_mul_f32_e32 v23, v3, v7
	v_mul_f32_e32 v3, v3, v6
	s_waitcnt vmcnt(16) lgkmcnt(0)
	v_mul_f32_e32 v50, v1, v25
	v_mul_lo_u32 v21, s8, v12
	v_fma_f32 v6, v2, v6, -v23
	v_fmac_f32_e32 v3, v2, v7
	v_mul_f32_e32 v2, v0, v25
	v_add_nc_u32_e32 v7, 10, v12
	v_add_nc_u32_e32 v23, 20, v12
	;; [unrolled: 1-line block ×3, first 2 shown]
	v_fma_f32 v0, v0, v24, -v50
	v_fmac_f32_e32 v2, v1, v24
	v_add_nc_u32_e32 v1, 40, v12
	v_add_nc_u32_e32 v24, 50, v12
	;; [unrolled: 1-line block ×4, first 2 shown]
	v_mul_lo_u32 v7, s8, v7
	v_mul_lo_u32 v1, s8, v1
	;; [unrolled: 1-line block ×7, first 2 shown]
	v_add_lshl_u32 v21, v22, v21, 3
	v_add_lshl_u32 v7, v22, v7, 3
	;; [unrolled: 1-line block ×7, first 2 shown]
	v_cndmask_b32_e32 v51, -1, v1, vcc_lo
	s_waitcnt vmcnt(14)
	v_mul_f32_e32 v1, v27, v29
	v_add_lshl_u32 v50, v22, v50, 3
	v_cndmask_b32_e32 v52, -1, v12, vcc_lo
	v_mul_f32_e32 v12, v26, v29
	v_cndmask_b32_e32 v22, -1, v7, vcc_lo
	v_sub_f32_e32 v7, v4, v58
	v_sub_f32_e32 v29, v5, v55
	;; [unrolled: 1-line block ×5, first 2 shown]
	v_fma_f32 v26, v26, v28, -v1
	v_fmac_f32_e32 v12, v27, v28
	s_waitcnt vmcnt(12)
	v_mul_f32_e32 v1, v31, v33
	v_mul_f32_e32 v27, v30, v33
	v_sub_f32_e32 v2, v54, v2
	s_waitcnt vmcnt(10)
	v_mul_f32_e32 v28, v35, v37
	v_mul_f32_e32 v33, v34, v37
	v_fma_f32 v30, v30, v32, -v1
	v_fmac_f32_e32 v27, v31, v32
	s_waitcnt vmcnt(8)
	v_mul_f32_e32 v1, v39, v41
	v_mul_f32_e32 v31, v38, v41
	v_fma_f32 v28, v34, v36, -v28
	v_fmac_f32_e32 v33, v35, v36
	v_fma_f32 v4, v4, 2.0, -v7
	v_fma_f32 v5, v5, 2.0, -v29
	;; [unrolled: 1-line block ×5, first 2 shown]
	v_sub_f32_e32 v2, v20, v2
	v_fma_f32 v38, v38, v40, -v1
	v_fmac_f32_e32 v31, v39, v40
	v_cndmask_b32_e32 v21, -1, v21, vcc_lo
	v_cndmask_b32_e32 v23, -1, v23, vcc_lo
	v_fma_f32 v20, v20, 2.0, -v2
	v_cndmask_b32_e32 v25, -1, v25, vcc_lo
	v_cndmask_b32_e32 v24, -1, v24, vcc_lo
	;; [unrolled: 1-line block ×3, first 2 shown]
	s_waitcnt vmcnt(6)
	v_mul_f32_e32 v32, v15, v43
	v_mul_f32_e32 v37, v14, v43
	s_waitcnt vmcnt(4)
	v_mul_f32_e32 v34, v17, v45
	v_mul_f32_e32 v35, v16, v45
	s_waitcnt vmcnt(2)
	v_mul_f32_e32 v36, v47, v49
	v_mul_f32_e32 v41, v46, v49
	s_waitcnt vmcnt(0)
	v_mul_f32_e32 v43, v9, v19
	v_mul_f32_e32 v19, v8, v19
	v_fma_f32 v45, v56, 2.0, -v13
	v_fma_f32 v49, v53, 2.0, -v10
	;; [unrolled: 1-line block ×3, first 2 shown]
	v_sub_f32_e32 v10, v7, v10
	v_add_f32_e32 v13, v29, v13
	v_add_f32_e32 v0, v11, v0
	v_fmac_f32_e32 v35, v17, v44
	v_fma_f32 v8, v8, v18, -v43
	v_fmac_f32_e32 v19, v9, v18
	v_sub_f32_e32 v1, v4, v45
	v_sub_f32_e32 v9, v5, v49
	;; [unrolled: 1-line block ×4, first 2 shown]
	v_fmac_f32_e32 v37, v15, v42
	v_fma_f32 v7, v7, 2.0, -v10
	v_fma_f32 v15, v29, 2.0, -v13
	;; [unrolled: 1-line block ×3, first 2 shown]
	v_fma_f32 v16, v16, v44, -v34
	v_fmamk_f32 v29, v2, 0x3f3504f3, v10
	v_fmamk_f32 v34, v0, 0x3f3504f3, v13
	v_fma_f32 v4, v4, 2.0, -v1
	v_fma_f32 v5, v5, 2.0, -v9
	;; [unrolled: 1-line block ×4, first 2 shown]
	v_fma_f32 v32, v14, v42, -v32
	v_fma_f32 v14, v46, v48, -v36
	v_fmamk_f32 v36, v20, 0xbf3504f3, v7
	v_fmamk_f32 v39, v11, 0xbf3504f3, v15
	v_fmac_f32_e32 v41, v47, v48
	v_sub_f32_e32 v18, v1, v18
	v_add_f32_e32 v17, v9, v17
	v_fmac_f32_e32 v29, 0xbf3504f3, v0
	v_fmac_f32_e32 v34, 0x3f3504f3, v2
	v_sub_f32_e32 v40, v4, v6
	v_sub_f32_e32 v42, v5, v3
	v_fmac_f32_e32 v36, 0xbf3504f3, v11
	v_fmac_f32_e32 v39, 0x3f3504f3, v20
	v_fma_f32 v6, v1, 2.0, -v18
	v_mul_f32_e32 v0, v17, v41
	v_mul_f32_e32 v1, v18, v41
	v_mul_f32_e32 v2, v34, v19
	v_mul_f32_e32 v3, v29, v19
	v_fma_f32 v19, v4, 2.0, -v40
	v_fma_f32 v41, v5, 2.0, -v42
	;; [unrolled: 1-line block ×7, first 2 shown]
	v_fma_f32 v0, v18, v14, -v0
	v_fmac_f32_e32 v1, v17, v14
	v_mul_f32_e32 v14, v12, v41
	v_mul_f32_e32 v13, v12, v19
	v_mul_f32_e32 v17, v45, v27
	v_mul_f32_e32 v15, v44, v27
	v_mul_f32_e32 v4, v20, v33
	v_mul_f32_e32 v5, v6, v33
	v_mul_f32_e32 v33, v43, v31
	v_mul_f32_e32 v7, v10, v31
	v_mul_f32_e32 v31, v42, v37
	v_mul_f32_e32 v9, v40, v37
	v_mul_f32_e32 v37, v39, v35
	v_mul_f32_e32 v11, v36, v35
	v_fma_f32 v12, v26, v19, -v14
	v_fmac_f32_e32 v13, v26, v41
	v_fma_f32 v14, v44, v30, -v17
	v_fmac_f32_e32 v15, v45, v30
	;; [unrolled: 2-line block ×7, first 2 shown]
	buffer_store_dwordx2 v[12:13], v21, s[4:7], s0 offen
	buffer_store_dwordx2 v[14:15], v22, s[4:7], s0 offen
	;; [unrolled: 1-line block ×8, first 2 shown]
	s_endpgm
	.section	.rodata,"a",@progbits
	.p2align	6, 0x0
	.amdhsa_kernel fft_rtc_fwd_len80_factors_10_8_wgs_160_tpt_10_sp_op_CI_CI_sbcc_twdbase8_2step_dirReg_intrinsicReadWrite
		.amdhsa_group_segment_fixed_size 0
		.amdhsa_private_segment_fixed_size 0
		.amdhsa_kernarg_size 112
		.amdhsa_user_sgpr_count 6
		.amdhsa_user_sgpr_private_segment_buffer 1
		.amdhsa_user_sgpr_dispatch_ptr 0
		.amdhsa_user_sgpr_queue_ptr 0
		.amdhsa_user_sgpr_kernarg_segment_ptr 1
		.amdhsa_user_sgpr_dispatch_id 0
		.amdhsa_user_sgpr_flat_scratch_init 0
		.amdhsa_user_sgpr_private_segment_size 0
		.amdhsa_wavefront_size32 1
		.amdhsa_uses_dynamic_stack 0
		.amdhsa_system_sgpr_private_segment_wavefront_offset 0
		.amdhsa_system_sgpr_workgroup_id_x 1
		.amdhsa_system_sgpr_workgroup_id_y 0
		.amdhsa_system_sgpr_workgroup_id_z 0
		.amdhsa_system_sgpr_workgroup_info 0
		.amdhsa_system_vgpr_workitem_id 0
		.amdhsa_next_free_vgpr 59
		.amdhsa_next_free_sgpr 52
		.amdhsa_reserve_vcc 1
		.amdhsa_reserve_flat_scratch 0
		.amdhsa_float_round_mode_32 0
		.amdhsa_float_round_mode_16_64 0
		.amdhsa_float_denorm_mode_32 3
		.amdhsa_float_denorm_mode_16_64 3
		.amdhsa_dx10_clamp 1
		.amdhsa_ieee_mode 1
		.amdhsa_fp16_overflow 0
		.amdhsa_workgroup_processor_mode 1
		.amdhsa_memory_ordered 1
		.amdhsa_forward_progress 0
		.amdhsa_shared_vgpr_count 0
		.amdhsa_exception_fp_ieee_invalid_op 0
		.amdhsa_exception_fp_denorm_src 0
		.amdhsa_exception_fp_ieee_div_zero 0
		.amdhsa_exception_fp_ieee_overflow 0
		.amdhsa_exception_fp_ieee_underflow 0
		.amdhsa_exception_fp_ieee_inexact 0
		.amdhsa_exception_int_div_zero 0
	.end_amdhsa_kernel
	.text
.Lfunc_end0:
	.size	fft_rtc_fwd_len80_factors_10_8_wgs_160_tpt_10_sp_op_CI_CI_sbcc_twdbase8_2step_dirReg_intrinsicReadWrite, .Lfunc_end0-fft_rtc_fwd_len80_factors_10_8_wgs_160_tpt_10_sp_op_CI_CI_sbcc_twdbase8_2step_dirReg_intrinsicReadWrite
                                        ; -- End function
	.section	.AMDGPU.csdata,"",@progbits
; Kernel info:
; codeLenInByte = 4672
; NumSgprs: 54
; NumVgprs: 59
; ScratchSize: 0
; MemoryBound: 0
; FloatMode: 240
; IeeeMode: 1
; LDSByteSize: 0 bytes/workgroup (compile time only)
; SGPRBlocks: 6
; VGPRBlocks: 7
; NumSGPRsForWavesPerEU: 54
; NumVGPRsForWavesPerEU: 59
; Occupancy: 15
; WaveLimiterHint : 0
; COMPUTE_PGM_RSRC2:SCRATCH_EN: 0
; COMPUTE_PGM_RSRC2:USER_SGPR: 6
; COMPUTE_PGM_RSRC2:TRAP_HANDLER: 0
; COMPUTE_PGM_RSRC2:TGID_X_EN: 1
; COMPUTE_PGM_RSRC2:TGID_Y_EN: 0
; COMPUTE_PGM_RSRC2:TGID_Z_EN: 0
; COMPUTE_PGM_RSRC2:TIDIG_COMP_CNT: 0
	.text
	.p2alignl 6, 3214868480
	.fill 48, 4, 3214868480
	.type	__hip_cuid_a48d2868a36e02fe,@object ; @__hip_cuid_a48d2868a36e02fe
	.section	.bss,"aw",@nobits
	.globl	__hip_cuid_a48d2868a36e02fe
__hip_cuid_a48d2868a36e02fe:
	.byte	0                               ; 0x0
	.size	__hip_cuid_a48d2868a36e02fe, 1

	.ident	"AMD clang version 19.0.0git (https://github.com/RadeonOpenCompute/llvm-project roc-6.4.0 25133 c7fe45cf4b819c5991fe208aaa96edf142730f1d)"
	.section	".note.GNU-stack","",@progbits
	.addrsig
	.addrsig_sym __hip_cuid_a48d2868a36e02fe
	.amdgpu_metadata
---
amdhsa.kernels:
  - .args:
      - .actual_access:  read_only
        .address_space:  global
        .offset:         0
        .size:           8
        .value_kind:     global_buffer
      - .address_space:  global
        .offset:         8
        .size:           8
        .value_kind:     global_buffer
      - .offset:         16
        .size:           8
        .value_kind:     by_value
      - .actual_access:  read_only
        .address_space:  global
        .offset:         24
        .size:           8
        .value_kind:     global_buffer
      - .actual_access:  read_only
        .address_space:  global
        .offset:         32
        .size:           8
        .value_kind:     global_buffer
      - .actual_access:  read_only
        .address_space:  global
        .offset:         40
        .size:           8
        .value_kind:     global_buffer
      - .offset:         48
        .size:           8
        .value_kind:     by_value
      - .actual_access:  read_only
        .address_space:  global
        .offset:         56
        .size:           8
        .value_kind:     global_buffer
      - .actual_access:  read_only
        .address_space:  global
        .offset:         64
        .size:           8
        .value_kind:     global_buffer
      - .offset:         72
        .size:           4
        .value_kind:     by_value
      - .actual_access:  read_only
        .address_space:  global
        .offset:         80
        .size:           8
        .value_kind:     global_buffer
      - .actual_access:  read_only
        .address_space:  global
        .offset:         88
        .size:           8
        .value_kind:     global_buffer
      - .address_space:  global
        .offset:         96
        .size:           8
        .value_kind:     global_buffer
      - .address_space:  global
        .offset:         104
        .size:           8
        .value_kind:     global_buffer
    .group_segment_fixed_size: 0
    .kernarg_segment_align: 8
    .kernarg_segment_size: 112
    .language:       OpenCL C
    .language_version:
      - 2
      - 0
    .max_flat_workgroup_size: 160
    .name:           fft_rtc_fwd_len80_factors_10_8_wgs_160_tpt_10_sp_op_CI_CI_sbcc_twdbase8_2step_dirReg_intrinsicReadWrite
    .private_segment_fixed_size: 0
    .sgpr_count:     54
    .sgpr_spill_count: 0
    .symbol:         fft_rtc_fwd_len80_factors_10_8_wgs_160_tpt_10_sp_op_CI_CI_sbcc_twdbase8_2step_dirReg_intrinsicReadWrite.kd
    .uniform_work_group_size: 1
    .uses_dynamic_stack: false
    .vgpr_count:     59
    .vgpr_spill_count: 0
    .wavefront_size: 32
    .workgroup_processor_mode: 1
amdhsa.target:   amdgcn-amd-amdhsa--gfx1030
amdhsa.version:
  - 1
  - 2
...

	.end_amdgpu_metadata
